;; amdgpu-corpus repo=ROCm/rocFFT kind=compiled arch=gfx906 opt=O3
	.text
	.amdgcn_target "amdgcn-amd-amdhsa--gfx906"
	.amdhsa_code_object_version 6
	.protected	bluestein_single_back_len288_dim1_sp_op_CI_CI ; -- Begin function bluestein_single_back_len288_dim1_sp_op_CI_CI
	.globl	bluestein_single_back_len288_dim1_sp_op_CI_CI
	.p2align	8
	.type	bluestein_single_back_len288_dim1_sp_op_CI_CI,@function
bluestein_single_back_len288_dim1_sp_op_CI_CI: ; @bluestein_single_back_len288_dim1_sp_op_CI_CI
; %bb.0:
	v_mul_u32_u24_e32 v1, 0xaab, v0
	s_load_dwordx4 s[16:19], s[4:5], 0x28
	v_lshrrev_b32_e32 v1, 16, v1
	v_mad_u64_u32 v[52:53], s[0:1], s6, 5, v[1:2]
	v_mov_b32_e32 v53, 0
	s_waitcnt lgkmcnt(0)
	v_cmp_gt_u64_e32 vcc, s[16:17], v[52:53]
	s_and_saveexec_b64 s[0:1], vcc
	s_cbranch_execz .LBB0_2
; %bb.1:
	s_load_dwordx4 s[0:3], s[4:5], 0x18
	s_load_dwordx4 s[8:11], s[4:5], 0x0
	v_mul_lo_u16_e32 v1, 24, v1
	v_sub_u16_e32 v75, v0, v1
	v_mov_b32_e32 v7, s19
	s_waitcnt lgkmcnt(0)
	s_load_dwordx4 s[12:15], s[0:1], 0x0
	v_or_b32_e32 v77, 0x60, v75
	s_add_u32 s6, s8, 0x900
	s_addc_u32 s7, s9, 0
	v_or_b32_e32 v78, 0xc0, v75
	s_waitcnt lgkmcnt(0)
	v_mad_u64_u32 v[0:1], s[0:1], s14, v52, 0
	v_mad_u64_u32 v[2:3], s[0:1], s12, v75, 0
	s_mul_i32 s14, s13, 0x180
	v_mov_b32_e32 v76, 0x300
	v_mad_u64_u32 v[4:5], s[0:1], s15, v52, v[1:2]
	s_mul_hi_u32 s15, s12, 0x180
	s_add_i32 s14, s15, s14
	v_mad_u64_u32 v[5:6], s[0:1], s13, v75, v[3:4]
	v_mov_b32_e32 v1, v4
	v_lshlrev_b64 v[0:1], 3, v[0:1]
	v_mov_b32_e32 v3, v5
	v_add_co_u32_e32 v12, vcc, s18, v0
	v_addc_co_u32_e32 v13, vcc, v7, v1, vcc
	v_lshlrev_b64 v[0:1], 3, v[2:3]
	v_mad_u64_u32 v[4:5], s[0:1], s12, v77, 0
	v_add_co_u32_e32 v0, vcc, v12, v0
	v_addc_co_u32_e32 v1, vcc, v13, v1, vcc
	s_mul_i32 s15, s12, 0x180
	global_load_dwordx2 v[2:3], v[0:1], off
	v_mov_b32_e32 v7, s14
	v_add_co_u32_e32 v0, vcc, s15, v0
	v_mad_u64_u32 v[5:6], s[0:1], s13, v77, v[5:6]
	v_addc_co_u32_e32 v1, vcc, v1, v7, vcc
	v_mad_u64_u32 v[6:7], s[0:1], s12, v78, 0
	v_mad_u64_u32 v[8:9], s[0:1], s12, v76, v[0:1]
	s_mul_i32 s16, s13, 0x300
	v_lshlrev_b64 v[4:5], 3, v[4:5]
	v_mad_u64_u32 v[10:11], s[0:1], s13, v78, v[7:8]
	v_add_u32_e32 v9, s16, v9
	v_add_co_u32_e32 v4, vcc, v12, v4
	v_mov_b32_e32 v7, v10
	v_mad_u64_u32 v[10:11], s[0:1], s12, v76, v[8:9]
	v_lshlrev_b64 v[6:7], 3, v[6:7]
	v_lshlrev_b32_e32 v82, 3, v75
	v_addc_co_u32_e32 v5, vcc, v13, v5, vcc
	global_load_dwordx2 v[28:29], v82, s[8:9]
	global_load_dwordx2 v[36:37], v82, s[8:9] offset:384
	global_load_dwordx2 v[30:31], v82, s[8:9] offset:768
	;; [unrolled: 1-line block ×3, first 2 shown]
	v_add_co_u32_e32 v6, vcc, v12, v6
	v_add_u32_e32 v11, s16, v11
	v_mov_b32_e32 v79, 0xfffff940
	v_addc_co_u32_e32 v7, vcc, v13, v7, vcc
	global_load_dwordx2 v[12:13], v[0:1], off
	global_load_dwordx2 v[14:15], v[4:5], off
	;; [unrolled: 1-line block ×3, first 2 shown]
	global_load_dwordx2 v[38:39], v82, s[8:9] offset:1536
	v_mad_u64_u32 v[0:1], s[0:1], s12, v79, v[10:11]
	global_load_dwordx2 v[32:33], v82, s[8:9] offset:1920
	s_mul_i32 s0, s13, 0xfffff940
	s_sub_i32 s0, s0, s12
	global_load_dwordx2 v[4:5], v[8:9], off
	v_add_u32_e32 v1, s0, v1
	global_load_dwordx2 v[6:7], v[10:11], off
	global_load_dwordx2 v[8:9], v[0:1], off
	global_load_dwordx2 v[40:41], v82, s[8:9] offset:576
	global_load_dwordx2 v[44:45], v82, s[8:9] offset:192
	v_mov_b32_e32 v10, s14
	v_add_co_u32_e32 v0, vcc, s15, v0
	v_addc_co_u32_e32 v1, vcc, v1, v10, vcc
	global_load_dwordx2 v[10:11], v[0:1], off
	v_mov_b32_e32 v18, s14
	v_add_co_u32_e32 v0, vcc, s15, v0
	v_addc_co_u32_e32 v1, vcc, v1, v18, vcc
	global_load_dwordx2 v[18:19], v[0:1], off
	global_load_dwordx2 v[42:43], v82, s[8:9] offset:1344
	global_load_dwordx2 v[48:49], v82, s[8:9] offset:960
	v_mov_b32_e32 v20, s14
	v_add_co_u32_e32 v0, vcc, s15, v0
	v_addc_co_u32_e32 v1, vcc, v1, v20, vcc
	global_load_dwordx2 v[20:21], v[0:1], off
	v_mov_b32_e32 v22, s14
	v_add_co_u32_e32 v0, vcc, s15, v0
	v_addc_co_u32_e32 v1, vcc, v1, v22, vcc
	global_load_dwordx2 v[22:23], v[0:1], off
	global_load_dwordx2 v[46:47], v82, s[8:9] offset:2112
	global_load_dwordx2 v[50:51], v82, s[8:9] offset:1728
	v_mov_b32_e32 v24, s14
	v_add_co_u32_e32 v0, vcc, s15, v0
	v_addc_co_u32_e32 v1, vcc, v1, v24, vcc
	global_load_dwordx2 v[0:1], v[0:1], off
	s_mov_b32 s0, 0xcccccccd
	v_mul_hi_u32 v24, v52, s0
	s_load_dwordx4 s[0:3], s[2:3], 0x0
	s_movk_i32 s14, 0xab
	s_load_dwordx2 s[4:5], s[4:5], 0x38
	v_lshrrev_b32_e32 v24, 2, v24
	v_lshl_add_u32 v24, v24, 2, v24
	v_sub_u32_e32 v24, v52, v24
	v_mul_u32_u24_e32 v63, 0x120, v24
	v_or_b32_e32 v25, v63, v75
	v_lshlrev_b32_e32 v81, 3, v25
	v_lshl_add_u32 v80, v63, 3, v82
	s_waitcnt vmcnt(22)
	v_mul_f32_e32 v24, v3, v29
	v_fmac_f32_e32 v24, v2, v28
	v_mul_f32_e32 v2, v2, v29
	v_fma_f32 v25, v3, v28, -v2
	ds_write_b64 v81, v[24:25]
	s_waitcnt vmcnt(18)
	v_mul_f32_e32 v2, v13, v37
	v_mul_f32_e32 v3, v12, v37
	v_fmac_f32_e32 v2, v12, v36
	v_fma_f32 v3, v13, v36, -v3
	s_waitcnt vmcnt(17)
	v_mul_f32_e32 v12, v15, v31
	v_mul_f32_e32 v13, v14, v31
	v_fmac_f32_e32 v12, v14, v30
	v_fma_f32 v13, v15, v30, -v13
	s_waitcnt vmcnt(12)
	v_mul_f32_e32 v24, v7, v33
	v_fmac_f32_e32 v24, v6, v32
	v_mul_f32_e32 v6, v6, v33
	v_fma_f32 v25, v7, v32, -v6
	s_waitcnt vmcnt(9)
	v_mul_f32_e32 v6, v9, v45
	v_mul_f32_e32 v7, v8, v45
	v_fmac_f32_e32 v6, v8, v44
	v_fma_f32 v7, v9, v44, -v7
	ds_write2_b64 v80, v[6:7], v[2:3] offset0:24 offset1:48
	s_waitcnt vmcnt(8)
	v_mul_f32_e32 v2, v11, v41
	v_mul_f32_e32 v3, v10, v41
	;; [unrolled: 1-line block ×3, first 2 shown]
	v_fmac_f32_e32 v2, v10, v40
	v_fma_f32 v3, v11, v40, -v3
	v_fmac_f32_e32 v14, v4, v34
	v_mul_f32_e32 v4, v4, v35
	ds_write2_b64 v80, v[2:3], v[12:13] offset0:72 offset1:96
	s_waitcnt vmcnt(5)
	v_mul_f32_e32 v2, v19, v49
	v_mul_f32_e32 v3, v18, v49
	v_fma_f32 v15, v5, v34, -v4
	v_fmac_f32_e32 v2, v18, v48
	v_fma_f32 v3, v19, v48, -v3
	v_mul_f32_e32 v4, v17, v39
	v_mul_f32_e32 v5, v16, v39
	ds_write2_b64 v80, v[2:3], v[14:15] offset0:120 offset1:144
	s_waitcnt vmcnt(4)
	v_mul_f32_e32 v2, v21, v43
	v_mul_f32_e32 v3, v20, v43
	v_fmac_f32_e32 v4, v16, v38
	v_fma_f32 v5, v17, v38, -v5
	v_fmac_f32_e32 v2, v20, v42
	v_fma_f32 v3, v21, v42, -v3
	ds_write2_b64 v80, v[2:3], v[4:5] offset0:168 offset1:192
	s_waitcnt vmcnt(1)
	v_mul_f32_e32 v2, v23, v51
	v_mul_f32_e32 v3, v22, v51
	v_fmac_f32_e32 v2, v22, v50
	v_fma_f32 v3, v23, v50, -v3
	ds_write2_b64 v80, v[2:3], v[24:25] offset0:216 offset1:240
	s_waitcnt vmcnt(0)
	v_mul_f32_e32 v2, v1, v47
	v_fmac_f32_e32 v2, v0, v46
	v_mul_f32_e32 v0, v0, v47
	v_fma_f32 v3, v1, v46, -v0
	ds_write_b64 v80, v[2:3] offset:2112
	s_waitcnt lgkmcnt(0)
	s_barrier
	ds_read2_b64 v[0:3], v80 offset0:24 offset1:48
	ds_read2_b64 v[4:7], v80 offset0:72 offset1:96
	ds_read_b64 v[26:27], v81
	ds_read2_b64 v[8:11], v80 offset0:168 offset1:192
	ds_read2_b64 v[12:15], v80 offset0:120 offset1:144
	;; [unrolled: 1-line block ×3, first 2 shown]
	ds_read_b64 v[57:58], v80 offset:2112
	s_waitcnt lgkmcnt(4)
	v_add_f32_e32 v21, v26, v6
	s_waitcnt lgkmcnt(3)
	v_add_f32_e32 v25, v21, v10
	v_add_f32_e32 v21, v6, v10
	v_fma_f32 v26, -0.5, v21, v26
	v_sub_f32_e32 v21, v7, v11
	v_mov_b32_e32 v53, v26
	v_fmac_f32_e32 v53, 0x3f5db3d7, v21
	v_fmac_f32_e32 v26, 0xbf5db3d7, v21
	v_add_f32_e32 v21, v27, v7
	v_add_f32_e32 v7, v7, v11
	v_fmac_f32_e32 v27, -0.5, v7
	v_sub_f32_e32 v6, v6, v10
	v_mov_b32_e32 v7, v27
	s_waitcnt lgkmcnt(1)
	v_add_f32_e32 v10, v14, v19
	v_fmac_f32_e32 v7, 0xbf5db3d7, v6
	v_fmac_f32_e32 v27, 0x3f5db3d7, v6
	v_add_f32_e32 v6, v2, v14
	v_fma_f32 v2, -0.5, v10, v2
	v_add_f32_e32 v54, v21, v11
	v_sub_f32_e32 v10, v15, v20
	v_mov_b32_e32 v11, v2
	v_fmac_f32_e32 v11, 0x3f5db3d7, v10
	v_fmac_f32_e32 v2, 0xbf5db3d7, v10
	v_add_f32_e32 v10, v3, v15
	v_add_f32_e32 v15, v15, v20
	v_fma_f32 v3, -0.5, v15, v3
	v_sub_f32_e32 v14, v14, v19
	v_mov_b32_e32 v15, v3
	v_fmac_f32_e32 v3, 0x3f5db3d7, v14
	v_mul_f32_e32 v55, -0.5, v2
	v_fmac_f32_e32 v15, 0xbf5db3d7, v14
	v_fmac_f32_e32 v55, 0x3f5db3d7, v3
	v_mul_f32_e32 v3, -0.5, v3
	v_add_f32_e32 v10, v10, v20
	v_mul_f32_e32 v14, 0x3f5db3d7, v15
	v_fmac_f32_e32 v3, 0xbf5db3d7, v2
	v_add_f32_e32 v2, v0, v12
	v_fmac_f32_e32 v14, 0.5, v11
	v_mul_f32_e32 v11, 0xbf5db3d7, v11
	v_add_f32_e32 v23, v26, v55
	v_add_f32_e32 v20, v54, v10
	v_sub_f32_e32 v55, v26, v55
	v_sub_f32_e32 v26, v54, v10
	v_add_f32_e32 v10, v2, v17
	v_add_f32_e32 v2, v12, v17
	v_fmac_f32_e32 v11, 0.5, v15
	v_fma_f32 v0, -0.5, v2, v0
	v_add_f32_e32 v22, v7, v11
	v_sub_f32_e32 v54, v7, v11
	v_sub_f32_e32 v2, v13, v18
	v_mov_b32_e32 v11, v0
	v_fmac_f32_e32 v11, 0x3f5db3d7, v2
	v_fmac_f32_e32 v0, 0xbf5db3d7, v2
	v_add_f32_e32 v2, v1, v13
	v_add_f32_e32 v21, v53, v14
	v_sub_f32_e32 v53, v53, v14
	v_add_f32_e32 v14, v2, v18
	v_add_f32_e32 v2, v13, v18
	v_fmac_f32_e32 v1, -0.5, v2
	v_sub_f32_e32 v2, v12, v17
	v_mov_b32_e32 v13, v1
	v_fmac_f32_e32 v13, 0xbf5db3d7, v2
	v_fmac_f32_e32 v1, 0x3f5db3d7, v2
	v_add_f32_e32 v2, v4, v8
	s_waitcnt lgkmcnt(0)
	v_add_f32_e32 v12, v2, v57
	v_add_f32_e32 v2, v8, v57
	;; [unrolled: 1-line block ×3, first 2 shown]
	v_sub_f32_e32 v56, v27, v3
	v_fma_f32 v3, -0.5, v2, v4
	v_sub_f32_e32 v2, v9, v58
	v_mov_b32_e32 v4, v3
	v_fmac_f32_e32 v4, 0x3f5db3d7, v2
	v_fmac_f32_e32 v3, 0xbf5db3d7, v2
	v_add_f32_e32 v2, v5, v9
	v_add_f32_e32 v15, v2, v58
	;; [unrolled: 1-line block ×3, first 2 shown]
	v_fmac_f32_e32 v5, -0.5, v2
	v_sub_f32_e32 v2, v8, v57
	v_mov_b32_e32 v9, v5
	v_fmac_f32_e32 v9, 0xbf5db3d7, v2
	v_fmac_f32_e32 v5, 0x3f5db3d7, v2
	v_mul_f32_e32 v18, -0.5, v3
	v_add_f32_e32 v6, v6, v19
	v_mul_f32_e32 v17, 0x3f5db3d7, v9
	v_fmac_f32_e32 v18, 0x3f5db3d7, v5
	v_add_co_u32_e32 v16, vcc, 24, v75
	v_add_f32_e32 v19, v25, v6
	v_sub_f32_e32 v25, v25, v6
	v_add_f32_e32 v6, v10, v12
	v_fmac_f32_e32 v17, 0.5, v4
	v_add_f32_e32 v2, v0, v18
	v_mul_f32_e32 v27, 0xbf5db3d7, v4
	v_sub_f32_e32 v4, v10, v12
	v_sub_f32_e32 v12, v0, v18
	v_mul_lo_u16_e32 v0, 6, v75
	v_add_lshl_u32 v84, v63, v0, 3
	v_mul_u32_u24_e32 v0, 6, v16
	v_fmac_f32_e32 v27, 0.5, v9
	v_add_lshl_u32 v83, v63, v0, 3
	v_mul_lo_u16_sdwa v0, v75, s14 dst_sel:DWORD dst_unused:UNUSED_PAD src0_sel:BYTE_0 src1_sel:DWORD
	v_add_f32_e32 v8, v11, v17
	v_add_f32_e32 v9, v13, v27
	v_sub_f32_e32 v10, v11, v17
	v_sub_f32_e32 v11, v13, v27
	v_lshrrev_b16_e32 v27, 10, v0
	v_mul_lo_u16_e32 v0, 6, v27
	v_sub_u16_e32 v61, v75, v0
	v_and_b32_e32 v0, 0xff, v61
	v_mad_u64_u32 v[17:18], s[12:13], v0, 40, s[10:11]
	v_mul_f32_e32 v57, -0.5, v5
	v_fmac_f32_e32 v57, 0xbf5db3d7, v3
	v_add_f32_e32 v7, v14, v15
	v_add_f32_e32 v3, v1, v57
	v_sub_f32_e32 v5, v14, v15
	v_sub_f32_e32 v13, v1, v57
	s_barrier
	ds_write_b128 v84, v[19:22]
	ds_write_b128 v84, v[23:26] offset:16
	ds_write_b128 v84, v[53:56] offset:32
	ds_write_b128 v83, v[6:9]
	ds_write_b128 v83, v[2:5] offset:16
	ds_write_b128 v83, v[10:13] offset:32
	s_waitcnt lgkmcnt(0)
	s_barrier
	global_load_dwordx4 v[4:7], v[17:18], off offset:16
	global_load_dwordx4 v[0:3], v[17:18], off
	v_mul_lo_u16_sdwa v8, v16, s14 dst_sel:DWORD dst_unused:UNUSED_PAD src0_sel:BYTE_0 src1_sel:DWORD
	v_lshrrev_b16_e32 v64, 10, v8
	v_mul_lo_u16_e32 v8, 6, v64
	v_sub_u16_e32 v8, v16, v8
	v_and_b32_e32 v65, 0xff, v8
	v_mad_u64_u32 v[25:26], s[12:13], v65, 40, s[10:11]
	global_load_dwordx4 v[8:11], v[25:26], off
	global_load_dwordx4 v[12:15], v[25:26], off offset:16
	global_load_dwordx2 v[55:56], v[17:18], off offset:32
	ds_read2_b64 v[17:20], v80 offset0:72 offset1:96
	ds_read2_b64 v[21:24], v80 offset0:120 offset1:144
	;; [unrolled: 1-line block ×3, first 2 shown]
	v_mad_legacy_u16 v27, v27, 36, v61
	v_cmp_gt_u16_e32 vcc, 12, v75
	s_waitcnt vmcnt(4) lgkmcnt(1)
	v_mul_f32_e32 v68, v23, v5
	s_waitcnt vmcnt(3)
	v_mul_f32_e32 v53, v20, v3
	v_fma_f32 v62, v19, v2, -v53
	global_load_dwordx2 v[53:54], v[25:26], off offset:32
	v_mul_f32_e32 v66, v19, v3
	v_mul_f32_e32 v19, v24, v5
	v_fma_f32 v67, v23, v4, -v19
	v_fmac_f32_e32 v66, v20, v2
	v_fmac_f32_e32 v68, v24, v4
	s_waitcnt vmcnt(3)
	v_mul_f32_e32 v19, v18, v9
	v_fma_f32 v69, v17, v8, -v19
	v_mul_f32_e32 v70, v17, v9
	s_waitcnt lgkmcnt(0)
	v_mul_f32_e32 v17, v60, v7
	v_fma_f32 v71, v59, v6, -v17
	v_mul_f32_e32 v59, v59, v7
	v_mul_f32_e32 v17, v22, v11
	v_fmac_f32_e32 v70, v18, v8
	v_fmac_f32_e32 v59, v60, v6
	v_fma_f32 v60, v21, v10, -v17
	ds_read2_b64 v[17:20], v80 offset0:216 offset1:240
	v_mul_f32_e32 v72, v21, v11
	s_waitcnt vmcnt(2)
	v_mul_f32_e32 v21, v58, v13
	v_fma_f32 v73, v57, v12, -v21
	v_fmac_f32_e32 v72, v22, v10
	s_waitcnt vmcnt(1) lgkmcnt(0)
	v_mul_f32_e32 v21, v20, v56
	v_fma_f32 v25, v19, v55, -v21
	ds_read_b64 v[21:22], v81
	ds_read_b64 v[23:24], v80 offset:2112
	v_mul_f32_e32 v57, v57, v13
	v_mul_f32_e32 v26, v19, v56
	;; [unrolled: 1-line block ×3, first 2 shown]
	v_fmac_f32_e32 v57, v58, v12
	v_fma_f32 v58, v17, v14, -v19
	v_mul_f32_e32 v74, v17, v15
	s_waitcnt lgkmcnt(1)
	v_add_f32_e32 v17, v22, v66
	v_add_f32_e32 v86, v17, v59
	;; [unrolled: 1-line block ×3, first 2 shown]
	v_fmac_f32_e32 v26, v20, v55
	v_fmac_f32_e32 v74, v18, v14
	v_fmac_f32_e32 v22, -0.5, v17
	ds_read2_b64 v[17:20], v80 offset0:24 offset1:48
	v_sub_f32_e32 v87, v66, v59
	v_add_f32_e32 v59, v21, v62
	v_add_f32_e32 v59, v59, v71
	;; [unrolled: 1-line block ×3, first 2 shown]
	v_sub_f32_e32 v62, v62, v71
	s_waitcnt lgkmcnt(0)
	v_mul_f32_e32 v71, v20, v1
	v_fma_f32 v71, v19, v0, -v71
	v_add_f32_e32 v88, v67, v25
	v_add_f32_e32 v85, v71, v67
	v_fmac_f32_e32 v71, -0.5, v88
	v_mul_f32_e32 v88, v19, v1
	v_fmac_f32_e32 v88, v20, v0
	v_add_f32_e32 v19, v88, v68
	v_add_f32_e32 v89, v19, v26
	;; [unrolled: 1-line block ×3, first 2 shown]
	v_fmac_f32_e32 v88, -0.5, v19
	v_sub_f32_e32 v90, v68, v26
	v_sub_f32_e32 v67, v67, v25
	v_mov_b32_e32 v19, v71
	v_mov_b32_e32 v20, v88
	v_fmac_f32_e32 v19, 0x3f5db3d7, v90
	v_fmac_f32_e32 v20, 0xbf5db3d7, v67
	v_fma_f32 v61, -0.5, v66, v21
	v_mul_f32_e32 v91, 0x3f5db3d7, v20
	v_mul_f32_e32 v92, 0xbf5db3d7, v19
	v_mov_b32_e32 v66, v61
	v_mov_b32_e32 v93, v22
	v_add_f32_e32 v68, v85, v25
	v_fmac_f32_e32 v91, 0.5, v19
	v_fmac_f32_e32 v92, 0.5, v20
	v_fmac_f32_e32 v66, 0x3f5db3d7, v87
	v_fmac_f32_e32 v93, 0xbf5db3d7, v62
	v_and_b32_e32 v21, 0xff, v27
	v_add_f32_e32 v19, v59, v68
	v_add_f32_e32 v20, v86, v89
	;; [unrolled: 1-line block ×4, first 2 shown]
	v_add_lshl_u32 v85, v63, v21, 3
	v_fmac_f32_e32 v71, 0xbf5db3d7, v90
	v_fmac_f32_e32 v88, 0x3f5db3d7, v67
	s_waitcnt vmcnt(0)
	s_barrier
	ds_write2_b64 v85, v[19:20], v[25:26] offset1:6
	v_sub_f32_e32 v19, v59, v68
	v_mul_f32_e32 v27, -0.5, v71
	v_mul_f32_e32 v59, -0.5, v88
	v_fmac_f32_e32 v61, 0xbf5db3d7, v87
	v_fmac_f32_e32 v22, 0x3f5db3d7, v62
	;; [unrolled: 1-line block ×4, first 2 shown]
	v_sub_f32_e32 v20, v86, v89
	v_add_f32_e32 v25, v61, v27
	v_add_f32_e32 v26, v22, v59
	ds_write2_b64 v85, v[25:26], v[19:20] offset0:12 offset1:18
	v_mul_f32_e32 v19, v24, v54
	v_fma_f32 v20, v23, v53, -v19
	v_mul_f32_e32 v26, v23, v54
	v_add_f32_e32 v19, v72, v74
	v_fmac_f32_e32 v26, v24, v53
	v_add_f32_e32 v62, v18, v72
	v_fmac_f32_e32 v18, -0.5, v19
	v_add_f32_e32 v19, v73, v20
	v_add_f32_e32 v67, v69, v73
	v_fmac_f32_e32 v69, -0.5, v19
	v_add_f32_e32 v19, v57, v26
	v_add_f32_e32 v68, v70, v57
	v_fmac_f32_e32 v70, -0.5, v19
	v_sub_f32_e32 v73, v73, v20
	v_add_f32_e32 v19, v60, v58
	v_sub_f32_e32 v57, v57, v26
	v_mov_b32_e32 v88, v70
	v_fmac_f32_e32 v70, 0x3f5db3d7, v73
	v_fma_f32 v71, -0.5, v19, v17
	v_add_f32_e32 v17, v17, v60
	v_sub_f32_e32 v60, v60, v58
	v_mov_b32_e32 v87, v69
	v_fmac_f32_e32 v69, 0xbf5db3d7, v57
	v_mul_f32_e32 v21, -0.5, v70
	v_mov_b32_e32 v86, v18
	v_fmac_f32_e32 v18, 0x3f5db3d7, v60
	v_fmac_f32_e32 v21, 0xbf5db3d7, v69
	v_sub_f32_e32 v23, v22, v59
	v_add_f32_e32 v17, v17, v58
	v_add_f32_e32 v59, v67, v20
	v_fmac_f32_e32 v87, 0x3f5db3d7, v57
	v_fmac_f32_e32 v88, 0xbf5db3d7, v73
	v_add_f32_e32 v19, v18, v21
	v_sub_f32_e32 v21, v18, v21
	v_sub_f32_e32 v22, v61, v27
	;; [unrolled: 1-line block ×3, first 2 shown]
	v_mov_b32_e32 v61, v71
	v_add_f32_e32 v58, v62, v74
	v_fmac_f32_e32 v86, 0xbf5db3d7, v60
	v_add_f32_e32 v60, v68, v26
	v_add_f32_e32 v26, v17, v59
	v_mul_f32_e32 v62, 0x3f5db3d7, v88
	v_sub_f32_e32 v57, v17, v59
	v_mul_f32_e32 v17, 0xbf5db3d7, v87
	v_fmac_f32_e32 v61, 0x3f5db3d7, v18
	v_fmac_f32_e32 v62, 0.5, v87
	v_fmac_f32_e32 v17, 0.5, v88
	v_add_f32_e32 v27, v58, v60
	v_sub_f32_e32 v58, v58, v60
	v_add_f32_e32 v59, v61, v62
	v_add_f32_e32 v60, v86, v17
	v_sub_f32_e32 v61, v61, v62
	v_sub_f32_e32 v62, v86, v17
	v_mul_u32_u24_e32 v17, 36, v64
	v_mul_f32_e32 v20, -0.5, v69
	v_add_u32_e32 v17, v17, v65
	v_sub_f32_e32 v24, v66, v91
	v_sub_f32_e32 v25, v93, v92
	v_fmac_f32_e32 v71, 0xbf5db3d7, v18
	v_fmac_f32_e32 v20, 0x3f5db3d7, v70
	v_add_lshl_u32 v86, v63, v17, 3
	v_add_f32_e32 v18, v71, v20
	v_sub_f32_e32 v20, v71, v20
	ds_write2_b64 v85, v[24:25], v[22:23] offset0:24 offset1:30
	ds_write2_b64 v86, v[26:27], v[59:60] offset1:6
	ds_write2_b64 v86, v[18:19], v[57:58] offset0:12 offset1:18
	ds_write2_b64 v86, v[61:62], v[20:21] offset0:24 offset1:30
	v_mad_u64_u32 v[61:62], s[12:13], v75, 24, s[10:11]
	s_waitcnt lgkmcnt(0)
	s_barrier
	global_load_dwordx4 v[20:23], v[61:62], off offset:240
	v_add_u32_e32 v17, -12, v75
	v_cndmask_b32_e32 v74, v17, v16, vcc
	v_mul_i32_i24_e32 v17, 24, v74
	v_mul_hi_i32_i24_e32 v16, 24, v74
	v_mov_b32_e32 v18, s11
	v_add_co_u32_e32 v64, vcc, s10, v17
	v_addc_co_u32_e32 v65, vcc, v18, v16, vcc
	global_load_dwordx4 v[16:19], v[64:65], off offset:240
	global_load_dwordx2 v[59:60], v[61:62], off offset:256
	global_load_dwordx2 v[57:58], v[64:65], off offset:256
	global_load_dwordx4 v[24:27], v[61:62], off offset:528
	ds_read2_b64 v[64:67], v80 offset0:72 offset1:96
	global_load_dwordx2 v[61:62], v[61:62], off offset:544
	v_cmp_lt_u16_e32 vcc, 11, v75
	s_waitcnt vmcnt(5) lgkmcnt(0)
	v_mul_f32_e32 v68, v65, v21
	v_fma_f32 v72, v64, v20, -v68
	ds_read2_b64 v[68:71], v80 offset0:216 offset1:240
	v_mul_f32_e32 v73, v64, v21
	v_fmac_f32_e32 v73, v65, v20
	s_waitcnt vmcnt(4)
	v_mul_f32_e32 v64, v67, v17
	v_fma_f32 v89, v66, v16, -v64
	v_mul_f32_e32 v90, v66, v17
	s_waitcnt vmcnt(3) lgkmcnt(0)
	v_mul_f32_e32 v64, v69, v60
	v_fmac_f32_e32 v90, v67, v16
	v_fma_f32 v87, v68, v59, -v64
	ds_read2_b64 v[64:67], v80 offset0:120 offset1:144
	v_mul_f32_e32 v88, v68, v60
	s_waitcnt vmcnt(2)
	v_mul_f32_e32 v68, v71, v58
	v_mul_f32_e32 v92, v70, v58
	v_fma_f32 v91, v70, v57, -v68
	v_fmac_f32_e32 v92, v71, v57
	s_waitcnt lgkmcnt(0)
	v_mul_f32_e32 v68, v67, v23
	v_mul_f32_e32 v71, v66, v23
	v_fmac_f32_e32 v88, v69, v59
	v_fma_f32 v70, v66, v22, -v68
	v_fmac_f32_e32 v71, v67, v22
	ds_read2_b64 v[66:69], v80 offset0:168 offset1:192
	s_waitcnt vmcnt(1)
	v_mul_f32_e32 v93, v65, v25
	v_fma_f32 v93, v64, v24, -v93
	v_mul_f32_e32 v94, v64, v25
	v_fmac_f32_e32 v94, v65, v24
	s_waitcnt lgkmcnt(0)
	v_mul_f32_e32 v64, v67, v19
	v_fma_f32 v95, v66, v18, -v64
	ds_read_b64 v[64:65], v81
	v_mul_f32_e32 v96, v66, v19
	v_mul_f32_e32 v66, v69, v27
	;; [unrolled: 1-line block ×3, first 2 shown]
	v_fma_f32 v97, v68, v26, -v66
	v_fmac_f32_e32 v98, v69, v26
	ds_read_b64 v[68:69], v80 offset:2112
	s_waitcnt lgkmcnt(1)
	v_sub_f32_e32 v99, v64, v70
	v_sub_f32_e32 v100, v65, v71
	;; [unrolled: 1-line block ×4, first 2 shown]
	v_fmac_f32_e32 v96, v67, v18
	v_fma_f32 v64, v64, 2.0, -v99
	v_fma_f32 v65, v65, 2.0, -v100
	v_fma_f32 v66, v72, 2.0, -v87
	v_fma_f32 v67, v73, 2.0, -v88
	v_sub_f32_e32 v70, v64, v66
	v_sub_f32_e32 v71, v65, v67
	v_fma_f32 v72, v64, 2.0, -v70
	v_fma_f32 v73, v65, 2.0, -v71
	ds_read2_b64 v[64:67], v80 offset0:24 offset1:48
	s_waitcnt vmcnt(0) lgkmcnt(0)
	s_barrier
	ds_write_b64 v81, v[72:73]
	v_sub_f32_e32 v72, v99, v88
	v_add_f32_e32 v73, v100, v87
	v_fma_f32 v87, v99, 2.0, -v72
	v_fma_f32 v88, v100, 2.0, -v73
	ds_write2_b64 v80, v[87:88], v[70:71] offset0:36 offset1:72
	ds_write_b64 v80, v[72:73] offset:864
	v_sub_f32_e32 v87, v64, v95
	v_sub_f32_e32 v73, v89, v91
	;; [unrolled: 1-line block ×3, first 2 shown]
	v_fma_f32 v70, v89, 2.0, -v73
	v_fma_f32 v88, v64, 2.0, -v87
	;; [unrolled: 1-line block ×3, first 2 shown]
	v_sub_f32_e32 v64, v88, v70
	v_sub_f32_e32 v72, v87, v72
	;; [unrolled: 1-line block ×3, first 2 shown]
	v_fma_f32 v70, v88, 2.0, -v64
	v_fma_f32 v88, v87, 2.0, -v72
	v_mov_b32_e32 v87, 0x90
	v_fma_f32 v89, v65, 2.0, -v95
	v_cndmask_b32_e32 v87, 0, v87, vcc
	v_sub_f32_e32 v65, v89, v71
	v_add_f32_e32 v73, v95, v73
	v_add_u32_e32 v74, v74, v87
	v_fma_f32 v71, v89, 2.0, -v65
	v_fma_f32 v89, v95, 2.0, -v73
	v_add_lshl_u32 v87, v63, v74, 3
	ds_write2_b64 v87, v[70:71], v[88:89] offset1:36
	ds_write2_b64 v87, v[64:65], v[72:73] offset0:72 offset1:108
	v_mul_f32_e32 v63, v69, v62
	v_mul_f32_e32 v64, v68, v62
	v_sub_f32_e32 v70, v66, v97
	v_sub_f32_e32 v71, v67, v98
	v_fma_f32 v63, v68, v61, -v63
	v_fmac_f32_e32 v64, v69, v61
	v_fma_f32 v65, v66, 2.0, -v70
	v_fma_f32 v66, v67, 2.0, -v71
	v_sub_f32_e32 v68, v93, v63
	v_sub_f32_e32 v67, v94, v64
	v_fma_f32 v63, v93, 2.0, -v68
	v_fma_f32 v64, v94, 2.0, -v67
	v_sub_f32_e32 v63, v65, v63
	v_sub_f32_e32 v64, v66, v64
	;; [unrolled: 1-line block ×3, first 2 shown]
	v_add_f32_e32 v68, v71, v68
	v_fma_f32 v65, v65, 2.0, -v63
	v_fma_f32 v66, v66, 2.0, -v64
	;; [unrolled: 1-line block ×4, first 2 shown]
	v_add_u32_e32 v88, 0x400, v80
	ds_write2_b64 v80, v[65:66], v[69:70] offset0:156 offset1:192
	ds_write2_b64 v88, v[63:64], v[67:68] offset0:100 offset1:136
	s_waitcnt lgkmcnt(0)
	s_barrier
	global_load_dwordx2 v[67:68], v82, s[10:11] offset:1296
	global_load_dwordx2 v[65:66], v82, s[10:11] offset:1488
	;; [unrolled: 1-line block ×6, first 2 shown]
	ds_read2_b64 v[89:92], v80 offset0:168 offset1:192
	ds_read_b64 v[109:110], v80 offset:2112
	s_waitcnt vmcnt(5) lgkmcnt(1)
	v_mul_f32_e32 v93, v90, v68
	v_fma_f32 v97, v89, v67, -v93
	ds_read2_b64 v[93:96], v80 offset0:216 offset1:240
	v_mul_f32_e32 v98, v89, v68
	s_waitcnt vmcnt(4)
	v_mul_f32_e32 v89, v92, v66
	v_fma_f32 v99, v91, v65, -v89
	v_mul_f32_e32 v100, v91, v66
	s_waitcnt vmcnt(3) lgkmcnt(0)
	v_mul_f32_e32 v89, v94, v64
	v_fmac_f32_e32 v98, v90, v67
	v_fmac_f32_e32 v100, v92, v65
	v_fma_f32 v105, v93, v63, -v89
	ds_read2_b64 v[89:92], v80 offset0:24 offset1:48
	v_mul_f32_e32 v106, v93, v64
	s_waitcnt vmcnt(2)
	v_mul_f32_e32 v93, v96, v72
	v_mul_f32_e32 v108, v95, v72
	v_fmac_f32_e32 v106, v94, v63
	s_waitcnt lgkmcnt(0)
	v_sub_f32_e32 v97, v89, v97
	v_sub_f32_e32 v98, v90, v98
	;; [unrolled: 1-line block ×4, first 2 shown]
	v_fma_f32 v107, v95, v71, -v93
	v_fmac_f32_e32 v108, v96, v71
	ds_read2_b64 v[93:96], v80 offset0:72 offset1:96
	v_fma_f32 v101, v89, 2.0, -v97
	v_fma_f32 v102, v90, 2.0, -v98
	;; [unrolled: 1-line block ×4, first 2 shown]
	ds_read2_b64 v[89:92], v80 offset0:120 offset1:144
	ds_read_b64 v[111:112], v81
	s_waitcnt vmcnt(1)
	v_mul_f32_e32 v113, v110, v70
	v_mul_f32_e32 v114, v109, v70
	v_fma_f32 v113, v109, v69, -v113
	v_fmac_f32_e32 v114, v110, v69
	s_waitcnt lgkmcnt(1)
	v_sub_f32_e32 v109, v89, v113
	v_sub_f32_e32 v110, v90, v114
	s_waitcnt vmcnt(0)
	v_mul_f32_e32 v113, v92, v74
	v_mul_f32_e32 v114, v91, v74
	v_fma_f32 v113, v91, v73, -v113
	v_fmac_f32_e32 v114, v92, v73
	v_sub_f32_e32 v105, v93, v105
	v_sub_f32_e32 v106, v94, v106
	;; [unrolled: 1-line block ×4, first 2 shown]
	s_waitcnt lgkmcnt(0)
	v_sub_f32_e32 v91, v111, v113
	v_sub_f32_e32 v92, v112, v114
	v_fma_f32 v93, v93, 2.0, -v105
	v_fma_f32 v94, v94, 2.0, -v106
	;; [unrolled: 1-line block ×8, first 2 shown]
	ds_write_b64 v81, v[111:112]
	ds_write2_b64 v80, v[101:102], v[103:104] offset0:24 offset1:48
	ds_write2_b64 v80, v[97:98], v[99:100] offset0:168 offset1:192
	ds_write_b64 v80, v[105:106] offset:1728
	ds_write2_b64 v80, v[93:94], v[95:96] offset0:72 offset1:96
	ds_write_b64 v80, v[107:108] offset:1920
	;; [unrolled: 2-line block ×3, first 2 shown]
	s_waitcnt lgkmcnt(0)
	s_barrier
	global_load_dwordx2 v[89:90], v82, s[8:9] offset:2304
	global_load_dwordx2 v[93:94], v82, s[6:7] offset:384
	global_load_dwordx2 v[97:98], v82, s[6:7] offset:576
	global_load_dwordx2 v[95:96], v82, s[6:7] offset:768
	global_load_dwordx2 v[99:100], v82, s[6:7] offset:192
	global_load_dwordx2 v[101:102], v82, s[6:7] offset:1152
	global_load_dwordx2 v[103:104], v82, s[6:7] offset:1344
	global_load_dwordx2 v[105:106], v82, s[6:7] offset:1536
	global_load_dwordx2 v[107:108], v82, s[6:7] offset:960
	global_load_dwordx2 v[109:110], v82, s[6:7] offset:1920
	global_load_dwordx2 v[111:112], v82, s[6:7] offset:1728
	global_load_dwordx2 v[113:114], v82, s[6:7] offset:2112
	ds_read_b64 v[91:92], v81
	s_mul_i32 s8, s1, 0x300
	s_waitcnt vmcnt(11) lgkmcnt(0)
	v_mul_f32_e32 v82, v92, v90
	v_mul_f32_e32 v116, v91, v90
	v_fma_f32 v115, v91, v89, -v82
	v_fmac_f32_e32 v116, v92, v89
	ds_write_b64 v81, v[115:116]
	ds_read2_b64 v[89:92], v80 offset0:24 offset1:48
	s_waitcnt vmcnt(10) lgkmcnt(0)
	v_mul_f32_e32 v82, v92, v94
	v_mul_f32_e32 v116, v91, v94
	v_fma_f32 v115, v91, v93, -v82
	v_fmac_f32_e32 v116, v92, v93
	ds_read2_b64 v[91:94], v80 offset0:72 offset1:96
	s_waitcnt vmcnt(7)
	v_mul_f32_e32 v82, v90, v100
	v_fma_f32 v117, v89, v99, -v82
	v_mul_f32_e32 v118, v89, v100
	v_fmac_f32_e32 v118, v90, v99
	s_waitcnt lgkmcnt(0)
	v_mul_f32_e32 v82, v94, v96
	v_mul_f32_e32 v100, v93, v96
	v_fma_f32 v99, v93, v95, -v82
	v_fmac_f32_e32 v100, v94, v95
	ds_read2_b64 v[93:96], v80 offset0:120 offset1:144
	v_mul_f32_e32 v82, v92, v98
	v_mul_f32_e32 v120, v91, v98
	v_fma_f32 v119, v91, v97, -v82
	v_fmac_f32_e32 v120, v92, v97
	ds_read2_b64 v[89:92], v80 offset0:168 offset1:192
	s_waitcnt vmcnt(6) lgkmcnt(1)
	v_mul_f32_e32 v82, v96, v102
	v_fma_f32 v97, v95, v101, -v82
	v_mul_f32_e32 v98, v95, v102
	s_waitcnt vmcnt(3)
	v_mul_f32_e32 v82, v94, v108
	v_fmac_f32_e32 v98, v96, v101
	v_fma_f32 v95, v93, v107, -v82
	v_mul_f32_e32 v96, v93, v108
	s_waitcnt lgkmcnt(0)
	v_mul_f32_e32 v82, v92, v106
	v_mul_f32_e32 v102, v91, v106
	v_fmac_f32_e32 v96, v94, v107
	v_fma_f32 v101, v91, v105, -v82
	v_fmac_f32_e32 v102, v92, v105
	ds_read2_b64 v[91:94], v80 offset0:216 offset1:240
	v_mul_f32_e32 v82, v90, v104
	v_mul_f32_e32 v106, v89, v104
	v_fma_f32 v105, v89, v103, -v82
	v_fmac_f32_e32 v106, v90, v103
	s_waitcnt vmcnt(2) lgkmcnt(0)
	v_mul_f32_e32 v82, v94, v110
	v_mul_f32_e32 v90, v93, v110
	v_fma_f32 v89, v93, v109, -v82
	v_fmac_f32_e32 v90, v94, v109
	s_waitcnt vmcnt(1)
	v_mul_f32_e32 v82, v92, v112
	v_mul_f32_e32 v94, v91, v112
	v_fma_f32 v93, v91, v111, -v82
	v_fmac_f32_e32 v94, v92, v111
	ds_read_b64 v[91:92], v80 offset:2112
	ds_write2_b64 v80, v[117:118], v[115:116] offset0:24 offset1:48
	ds_write2_b64 v80, v[119:120], v[99:100] offset0:72 offset1:96
	;; [unrolled: 1-line block ×5, first 2 shown]
	s_waitcnt vmcnt(0) lgkmcnt(5)
	v_mul_f32_e32 v82, v92, v114
	v_mul_f32_e32 v90, v91, v114
	v_fma_f32 v89, v91, v113, -v82
	v_fmac_f32_e32 v90, v92, v113
	ds_write_b64 v80, v[89:90] offset:2112
	s_waitcnt lgkmcnt(0)
	s_barrier
	ds_read_b64 v[110:111], v81
	ds_read_b64 v[112:113], v80 offset:2112
	ds_read2_b64 v[89:92], v80 offset0:72 offset1:96
	ds_read2_b64 v[93:96], v80 offset0:168 offset1:192
	;; [unrolled: 1-line block ×5, first 2 shown]
	s_waitcnt lgkmcnt(4)
	v_add_f32_e32 v82, v111, v92
	s_waitcnt lgkmcnt(3)
	v_add_f32_e32 v109, v92, v96
	v_fmac_f32_e32 v111, -0.5, v109
	s_waitcnt lgkmcnt(1)
	v_add_f32_e32 v116, v100, v104
	v_add_f32_e32 v109, v99, v103
	s_waitcnt lgkmcnt(0)
	v_fma_f32 v116, -0.5, v116, v108
	v_fma_f32 v114, -0.5, v109, v107
	v_sub_f32_e32 v117, v99, v103
	v_mov_b32_e32 v118, v116
	v_sub_f32_e32 v115, v100, v104
	v_mov_b32_e32 v109, v114
	v_fmac_f32_e32 v118, 0x3f5db3d7, v117
	v_fmac_f32_e32 v109, 0xbf5db3d7, v115
	v_mul_f32_e32 v119, 0xbf5db3d7, v118
	v_mul_f32_e32 v118, 0.5, v118
	v_fmac_f32_e32 v119, 0.5, v109
	v_fmac_f32_e32 v118, 0x3f5db3d7, v109
	v_add_f32_e32 v109, v110, v91
	v_add_f32_e32 v120, v109, v95
	;; [unrolled: 1-line block ×3, first 2 shown]
	v_fma_f32 v121, -0.5, v109, v110
	v_sub_f32_e32 v92, v92, v96
	v_mov_b32_e32 v122, v121
	v_add_f32_e32 v82, v82, v96
	v_sub_f32_e32 v91, v91, v95
	v_mov_b32_e32 v95, v111
	v_add_f32_e32 v96, v107, v99
	v_add_f32_e32 v99, v108, v100
	v_fmac_f32_e32 v122, 0xbf5db3d7, v92
	v_fmac_f32_e32 v95, 0x3f5db3d7, v91
	v_add_f32_e32 v96, v96, v103
	v_add_f32_e32 v99, v99, v104
	;; [unrolled: 1-line block ×6, first 2 shown]
	v_fmac_f32_e32 v116, 0xbf5db3d7, v117
	s_barrier
	ds_write_b128 v84, v[107:110]
	v_sub_f32_e32 v110, v82, v99
	v_fmac_f32_e32 v111, 0xbf5db3d7, v91
	v_fmac_f32_e32 v114, 0x3f5db3d7, v115
	v_mul_f32_e32 v82, 0xbf5db3d7, v116
	v_mul_f32_e32 v91, -0.5, v116
	v_fmac_f32_e32 v121, 0x3f5db3d7, v92
	v_fmac_f32_e32 v82, -0.5, v114
	v_fmac_f32_e32 v91, 0x3f5db3d7, v114
	v_sub_f32_e32 v109, v120, v96
	v_add_f32_e32 v107, v121, v82
	v_add_f32_e32 v108, v111, v91
	v_sub_f32_e32 v99, v94, v113
	v_add_f32_e32 v100, v90, v94
	v_add_f32_e32 v94, v94, v113
	ds_write_b128 v84, v[107:110] offset:16
	v_sub_f32_e32 v110, v111, v91
	v_sub_f32_e32 v107, v122, v119
	;; [unrolled: 1-line block ×4, first 2 shown]
	v_add_f32_e32 v82, v105, v97
	v_sub_f32_e32 v95, v98, v102
	v_add_f32_e32 v91, v106, v98
	v_add_f32_e32 v92, v98, v102
	;; [unrolled: 1-line block ×3, first 2 shown]
	v_fmac_f32_e32 v90, -0.5, v94
	ds_write_b128 v84, v[107:110] offset:32
	v_add_f32_e32 v84, v97, v101
	v_sub_f32_e32 v96, v97, v101
	v_add_f32_e32 v82, v82, v101
	v_add_f32_e32 v97, v91, v102
	;; [unrolled: 1-line block ×3, first 2 shown]
	v_sub_f32_e32 v101, v93, v112
	v_fmac_f32_e32 v106, -0.5, v92
	v_fma_f32 v89, -0.5, v98, v89
	v_mov_b32_e32 v92, v90
	v_add_f32_e32 v102, v91, v112
	v_mov_b32_e32 v91, v89
	v_fmac_f32_e32 v92, 0x3f5db3d7, v101
	v_fma_f32 v84, -0.5, v84, v105
	v_fmac_f32_e32 v91, 0xbf5db3d7, v99
	v_mul_f32_e32 v98, 0xbf5db3d7, v92
	v_mul_f32_e32 v103, 0.5, v92
	v_mov_b32_e32 v104, v84
	v_mov_b32_e32 v105, v106
	v_add_f32_e32 v100, v100, v113
	v_fmac_f32_e32 v98, 0.5, v91
	v_fmac_f32_e32 v103, 0x3f5db3d7, v91
	v_fmac_f32_e32 v104, 0xbf5db3d7, v95
	;; [unrolled: 1-line block ×3, first 2 shown]
	v_add_f32_e32 v91, v82, v102
	v_add_f32_e32 v93, v104, v98
	v_add_f32_e32 v92, v97, v100
	v_add_f32_e32 v94, v105, v103
	v_fmac_f32_e32 v90, 0xbf5db3d7, v101
	ds_write_b128 v83, v[91:94]
	v_mul_f32_e32 v93, 0xbf5db3d7, v90
	v_mul_f32_e32 v94, -0.5, v90
	v_fmac_f32_e32 v89, 0x3f5db3d7, v99
	v_fmac_f32_e32 v84, 0x3f5db3d7, v95
	;; [unrolled: 1-line block ×3, first 2 shown]
	v_fmac_f32_e32 v93, -0.5, v89
	v_fmac_f32_e32 v94, 0x3f5db3d7, v89
	v_sub_f32_e32 v91, v82, v102
	v_sub_f32_e32 v92, v97, v100
	v_add_f32_e32 v89, v84, v93
	v_add_f32_e32 v90, v106, v94
	ds_write_b128 v83, v[89:92] offset:16
	v_sub_f32_e32 v92, v106, v94
	v_sub_f32_e32 v89, v104, v98
	;; [unrolled: 1-line block ×4, first 2 shown]
	ds_write_b128 v83, v[89:92] offset:32
	s_waitcnt lgkmcnt(0)
	s_barrier
	ds_read2_b64 v[89:92], v80 offset0:216 offset1:240
	s_waitcnt lgkmcnt(0)
	v_mul_f32_e32 v82, v56, v92
	v_mul_f32_e32 v56, v56, v91
	v_fmac_f32_e32 v82, v55, v91
	v_fma_f32 v55, v55, v92, -v56
	ds_read2_b64 v[91:94], v80 offset0:168 offset1:192
	v_mul_f32_e32 v56, v15, v90
	v_mul_f32_e32 v15, v15, v89
	v_fmac_f32_e32 v56, v14, v89
	v_fma_f32 v83, v14, v90, -v15
	s_waitcnt lgkmcnt(0)
	v_mul_f32_e32 v84, v13, v92
	v_mul_f32_e32 v13, v13, v91
	v_fmac_f32_e32 v84, v12, v91
	v_fma_f32 v89, v12, v92, -v13
	ds_read2_b64 v[12:15], v80 offset0:120 offset1:144
	v_mul_f32_e32 v90, v7, v94
	v_mul_f32_e32 v7, v7, v93
	v_fmac_f32_e32 v90, v6, v93
	v_fma_f32 v91, v6, v94, -v7
	;; [unrolled: 10-line block ×3, first 2 shown]
	s_waitcnt lgkmcnt(0)
	v_mul_f32_e32 v13, v9, v5
	v_fmac_f32_e32 v13, v8, v4
	v_mul_f32_e32 v4, v9, v4
	v_fma_f32 v93, v8, v5, -v4
	ds_read2_b64 v[8:11], v80 offset0:24 offset1:48
	v_mul_f32_e32 v4, v3, v7
	v_mul_f32_e32 v3, v3, v6
	v_fmac_f32_e32 v4, v2, v6
	v_fma_f32 v5, v2, v7, -v3
	ds_read_b64 v[2:3], v81
	s_waitcnt lgkmcnt(1)
	v_mul_f32_e32 v94, v1, v11
	v_mul_f32_e32 v1, v1, v10
	v_fmac_f32_e32 v94, v0, v10
	v_fma_f32 v10, v0, v11, -v1
	ds_read_b64 v[0:1], v80 offset:2112
	s_waitcnt lgkmcnt(1)
	v_add_f32_e32 v6, v3, v5
	v_sub_f32_e32 v95, v5, v91
	v_add_f32_e32 v5, v5, v91
	v_add_f32_e32 v11, v6, v91
	v_fmac_f32_e32 v3, -0.5, v5
	v_add_f32_e32 v5, v2, v4
	v_add_f32_e32 v6, v92, v82
	v_add_f32_e32 v91, v5, v90
	v_add_f32_e32 v5, v4, v90
	v_sub_f32_e32 v90, v4, v90
	v_add_f32_e32 v4, v94, v92
	v_fmac_f32_e32 v94, -0.5, v6
	v_add_f32_e32 v6, v10, v14
	v_add_f32_e32 v96, v6, v55
	;; [unrolled: 1-line block ×3, first 2 shown]
	v_fmac_f32_e32 v10, -0.5, v6
	v_sub_f32_e32 v97, v14, v55
	v_sub_f32_e32 v55, v92, v82
	v_mov_b32_e32 v6, v10
	v_add_f32_e32 v14, v4, v82
	v_mov_b32_e32 v4, v94
	v_fmac_f32_e32 v6, 0x3f5db3d7, v55
	v_fma_f32 v2, -0.5, v5, v2
	v_fmac_f32_e32 v4, 0xbf5db3d7, v97
	v_mul_f32_e32 v82, 0xbf5db3d7, v6
	v_mul_f32_e32 v92, 0.5, v6
	v_mov_b32_e32 v98, v2
	v_mov_b32_e32 v99, v3
	v_fmac_f32_e32 v82, 0.5, v4
	v_fmac_f32_e32 v92, 0x3f5db3d7, v4
	v_fmac_f32_e32 v98, 0xbf5db3d7, v95
	;; [unrolled: 1-line block ×3, first 2 shown]
	v_add_f32_e32 v4, v91, v14
	v_add_f32_e32 v5, v11, v96
	;; [unrolled: 1-line block ×4, first 2 shown]
	v_fmac_f32_e32 v10, 0xbf5db3d7, v55
	s_waitcnt lgkmcnt(0)
	s_barrier
	ds_write2_b64 v85, v[4:5], v[6:7] offset1:6
	v_sub_f32_e32 v5, v11, v96
	v_fmac_f32_e32 v94, 0x3f5db3d7, v97
	v_mul_f32_e32 v11, 0xbf5db3d7, v10
	v_mul_f32_e32 v10, -0.5, v10
	v_fmac_f32_e32 v2, 0x3f5db3d7, v95
	v_fmac_f32_e32 v3, 0xbf5db3d7, v90
	v_fmac_f32_e32 v11, -0.5, v94
	v_fmac_f32_e32 v10, 0x3f5db3d7, v94
	v_sub_f32_e32 v4, v91, v14
	v_add_f32_e32 v6, v2, v11
	v_add_f32_e32 v7, v3, v10
	ds_write2_b64 v85, v[6:7], v[4:5] offset0:12 offset1:18
	v_sub_f32_e32 v3, v3, v10
	v_sub_f32_e32 v2, v2, v11
	;; [unrolled: 1-line block ×4, first 2 shown]
	ds_write2_b64 v85, v[4:5], v[2:3] offset0:24 offset1:30
	v_mul_f32_e32 v2, v54, v1
	v_fmac_f32_e32 v2, v53, v0
	v_mul_f32_e32 v0, v54, v0
	v_fma_f32 v0, v53, v1, -v0
	v_add_f32_e32 v1, v12, v83
	v_add_f32_e32 v4, v9, v12
	v_fmac_f32_e32 v9, -0.5, v1
	v_add_f32_e32 v1, v84, v2
	v_add_f32_e32 v5, v13, v84
	v_fmac_f32_e32 v13, -0.5, v1
	;; [unrolled: 3-line block ×3, first 2 shown]
	v_sub_f32_e32 v53, v84, v2
	v_add_f32_e32 v1, v15, v56
	v_sub_f32_e32 v14, v89, v0
	v_mov_b32_e32 v54, v93
	v_fmac_f32_e32 v93, 0xbf5db3d7, v53
	v_fma_f32 v7, -0.5, v1, v8
	v_add_f32_e32 v8, v8, v15
	v_sub_f32_e32 v10, v15, v56
	v_mov_b32_e32 v11, v9
	v_mov_b32_e32 v15, v13
	v_fmac_f32_e32 v13, 0x3f5db3d7, v14
	v_mul_f32_e32 v3, -0.5, v93
	v_fmac_f32_e32 v9, 0xbf5db3d7, v10
	v_fmac_f32_e32 v3, 0x3f5db3d7, v13
	;; [unrolled: 1-line block ×3, first 2 shown]
	v_add_f32_e32 v10, v5, v2
	v_fmac_f32_e32 v54, 0x3f5db3d7, v53
	v_mul_f32_e32 v2, 0xbf5db3d7, v93
	v_add_f32_e32 v1, v9, v3
	v_sub_f32_e32 v3, v9, v3
	v_sub_f32_e32 v9, v12, v83
	v_mov_b32_e32 v12, v7
	v_fmac_f32_e32 v15, 0xbf5db3d7, v14
	v_fmac_f32_e32 v2, -0.5, v13
	v_mul_f32_e32 v13, 0xbf5db3d7, v54
	v_mul_f32_e32 v53, 0.5, v54
	v_add_f32_e32 v8, v8, v56
	v_fmac_f32_e32 v12, 0xbf5db3d7, v9
	v_fmac_f32_e32 v7, 0x3f5db3d7, v9
	v_add_f32_e32 v9, v4, v83
	v_add_f32_e32 v14, v6, v0
	v_fmac_f32_e32 v13, 0.5, v15
	v_fmac_f32_e32 v53, 0x3f5db3d7, v15
	v_add_f32_e32 v0, v7, v2
	v_sub_f32_e32 v2, v7, v2
	v_add_f32_e32 v4, v8, v10
	v_add_f32_e32 v5, v9, v14
	v_sub_f32_e32 v6, v8, v10
	v_sub_f32_e32 v7, v9, v14
	v_add_f32_e32 v8, v12, v13
	v_add_f32_e32 v9, v11, v53
	v_sub_f32_e32 v10, v12, v13
	v_sub_f32_e32 v11, v11, v53
	ds_write2_b64 v86, v[4:5], v[8:9] offset1:6
	ds_write2_b64 v86, v[0:1], v[6:7] offset0:12 offset1:18
	ds_write2_b64 v86, v[10:11], v[2:3] offset0:24 offset1:30
	s_waitcnt lgkmcnt(0)
	s_barrier
	ds_read2_b64 v[0:3], v80 offset0:72 offset1:96
	ds_read2_b64 v[4:7], v80 offset0:120 offset1:144
	;; [unrolled: 1-line block ×3, first 2 shown]
	s_waitcnt lgkmcnt(2)
	v_mul_f32_e32 v12, v21, v1
	v_fmac_f32_e32 v12, v20, v0
	v_mul_f32_e32 v0, v21, v0
	v_fma_f32 v13, v20, v1, -v0
	s_waitcnt lgkmcnt(1)
	v_mul_f32_e32 v0, v23, v6
	v_mul_f32_e32 v14, v23, v7
	v_fma_f32 v15, v22, v7, -v0
	s_waitcnt lgkmcnt(0)
	v_mul_f32_e32 v20, v60, v9
	v_mul_f32_e32 v0, v60, v8
	v_fmac_f32_e32 v14, v22, v6
	v_fmac_f32_e32 v20, v59, v8
	v_fma_f32 v21, v59, v9, -v0
	ds_read2_b64 v[6:9], v80 offset0:168 offset1:192
	v_mul_f32_e32 v0, v58, v10
	v_mul_f32_e32 v53, v17, v3
	;; [unrolled: 1-line block ×3, first 2 shown]
	v_fma_f32 v23, v57, v11, -v0
	v_fmac_f32_e32 v53, v16, v2
	v_mul_f32_e32 v0, v17, v2
	s_waitcnt lgkmcnt(0)
	v_mul_f32_e32 v17, v19, v7
	v_mul_f32_e32 v2, v19, v6
	v_fmac_f32_e32 v22, v57, v10
	v_fmac_f32_e32 v17, v18, v6
	v_fma_f32 v18, v18, v7, -v2
	v_mul_f32_e32 v54, v25, v5
	v_mul_f32_e32 v2, v25, v4
	ds_read_b64 v[6:7], v81
	ds_read_b64 v[10:11], v80 offset:2112
	v_fmac_f32_e32 v54, v24, v4
	v_fma_f32 v24, v24, v5, -v2
	v_mul_f32_e32 v25, v27, v9
	v_mul_f32_e32 v2, v27, v8
	v_fma_f32 v16, v16, v3, -v0
	v_fmac_f32_e32 v25, v26, v8
	v_fma_f32 v26, v26, v9, -v2
	ds_read2_b64 v[2:5], v80 offset0:24 offset1:48
	s_waitcnt lgkmcnt(1)
	v_mul_f32_e32 v27, v62, v11
	v_mul_f32_e32 v8, v62, v10
	v_fmac_f32_e32 v27, v61, v10
	v_fma_f32 v55, v61, v11, -v8
	v_sub_f32_e32 v14, v6, v14
	v_sub_f32_e32 v15, v7, v15
	;; [unrolled: 1-line block ×4, first 2 shown]
	v_fma_f32 v8, v6, 2.0, -v14
	v_fma_f32 v9, v7, 2.0, -v15
	;; [unrolled: 1-line block ×4, first 2 shown]
	v_add_f32_e32 v10, v14, v10
	v_sub_f32_e32 v11, v15, v11
	s_waitcnt lgkmcnt(0)
	v_sub_f32_e32 v19, v2, v17
	v_sub_f32_e32 v20, v3, v18
	;; [unrolled: 1-line block ×4, first 2 shown]
	v_fma_f32 v12, v14, 2.0, -v10
	v_fma_f32 v13, v15, 2.0, -v11
	;; [unrolled: 1-line block ×6, first 2 shown]
	v_add_f32_e32 v16, v19, v18
	v_sub_f32_e32 v17, v20, v17
	v_sub_f32_e32 v25, v4, v25
	v_sub_f32_e32 v26, v5, v26
	v_sub_f32_e32 v23, v54, v27
	v_sub_f32_e32 v22, v24, v55
	v_fma_f32 v18, v19, 2.0, -v16
	v_fma_f32 v19, v20, 2.0, -v17
	;; [unrolled: 1-line block ×6, first 2 shown]
	v_sub_f32_e32 v6, v8, v6
	v_sub_f32_e32 v7, v9, v7
	;; [unrolled: 1-line block ×6, first 2 shown]
	v_add_f32_e32 v22, v25, v22
	v_sub_f32_e32 v23, v26, v23
	v_fma_f32 v8, v8, 2.0, -v6
	v_fma_f32 v9, v9, 2.0, -v7
	;; [unrolled: 1-line block ×8, first 2 shown]
	s_barrier
	ds_write_b64 v81, v[8:9]
	ds_write2_b64 v80, v[12:13], v[6:7] offset0:36 offset1:72
	ds_write_b64 v80, v[10:11] offset:864
	ds_write2_b64 v87, v[14:15], v[18:19] offset1:36
	ds_write2_b64 v87, v[2:3], v[16:17] offset0:72 offset1:108
	ds_write2_b64 v80, v[20:21], v[24:25] offset0:156 offset1:192
	;; [unrolled: 1-line block ×3, first 2 shown]
	s_waitcnt lgkmcnt(0)
	s_barrier
	ds_read2_b64 v[2:5], v80 offset0:120 offset1:144
	ds_read2_b64 v[6:9], v80 offset0:24 offset1:48
	;; [unrolled: 1-line block ×5, first 2 shown]
	ds_read_b64 v[22:23], v81
	ds_read_b64 v[24:25], v80 offset:2112
	s_waitcnt lgkmcnt(6)
	v_mul_f32_e32 v26, v74, v5
	v_fmac_f32_e32 v26, v73, v4
	v_mul_f32_e32 v4, v74, v4
	v_fma_f32 v5, v73, v5, -v4
	s_waitcnt lgkmcnt(4)
	v_mul_f32_e32 v4, v68, v10
	v_fma_f32 v53, v67, v11, -v4
	v_mul_f32_e32 v4, v66, v12
	v_fma_f32 v55, v65, v13, -v4
	s_waitcnt lgkmcnt(2)
	v_mul_f32_e32 v4, v64, v18
	v_fma_f32 v57, v63, v19, -v4
	v_mul_f32_e32 v4, v72, v20
	v_fma_f32 v59, v71, v21, -v4
	s_waitcnt lgkmcnt(0)
	v_mul_f32_e32 v60, v70, v25
	v_mul_f32_e32 v4, v70, v24
	;; [unrolled: 1-line block ×6, first 2 shown]
	v_fmac_f32_e32 v60, v69, v24
	v_fma_f32 v25, v69, v25, -v4
	v_fmac_f32_e32 v27, v67, v10
	v_fmac_f32_e32 v54, v65, v12
	;; [unrolled: 1-line block ×4, first 2 shown]
	v_sub_f32_e32 v4, v22, v26
	v_sub_f32_e32 v5, v23, v5
	;; [unrolled: 1-line block ×4, first 2 shown]
	v_fma_f32 v10, v22, 2.0, -v4
	v_fma_f32 v11, v23, 2.0, -v5
	v_sub_f32_e32 v12, v6, v27
	v_sub_f32_e32 v13, v7, v53
	;; [unrolled: 1-line block ×8, first 2 shown]
	v_fma_f32 v2, v2, 2.0, -v24
	v_fma_f32 v3, v3, 2.0, -v25
	;; [unrolled: 1-line block ×10, first 2 shown]
	ds_write_b64 v81, v[10:11]
	ds_write2_b64 v80, v[6:7], v[8:9] offset0:24 offset1:48
	ds_write2_b64 v80, v[12:13], v[18:19] offset0:168 offset1:192
	ds_write_b64 v80, v[20:21] offset:1728
	ds_write2_b64 v80, v[14:15], v[16:17] offset0:72 offset1:96
	ds_write_b64 v80, v[22:23] offset:1920
	;; [unrolled: 2-line block ×3, first 2 shown]
	s_waitcnt lgkmcnt(0)
	s_barrier
	ds_read_b64 v[2:3], v81
	ds_read_b64 v[14:15], v80 offset:2112
	v_mad_u64_u32 v[0:1], s[6:7], s2, v52, 0
	v_mad_u64_u32 v[7:8], s[6:7], s0, v75, 0
	s_waitcnt lgkmcnt(1)
	v_mad_u64_u32 v[4:5], s[2:3], s3, v52, v[1:2]
	v_mul_f32_e32 v1, v29, v3
	v_fmac_f32_e32 v1, v28, v2
	v_cvt_f64_f32_e32 v[5:6], v1
	s_mov_b32 s2, 0x1c71c71c
	s_mov_b32 s3, 0x3f6c71c7
	v_mul_f32_e32 v1, v29, v2
	v_fma_f32 v1, v28, v3, -v1
	v_mul_f64 v[5:6], v[5:6], s[2:3]
	v_cvt_f64_f32_e32 v[1:2], v1
	v_mul_f64 v[9:10], v[1:2], s[2:3]
	v_mov_b32_e32 v2, v8
	v_mad_u64_u32 v[11:12], s[6:7], s1, v75, v[2:3]
	v_mov_b32_e32 v1, v4
	v_cvt_f32_f64_e32 v12, v[5:6]
	ds_read2_b64 v[2:5], v80 offset0:24 offset1:48
	v_lshlrev_b64 v[0:1], 3, v[0:1]
	v_cvt_f32_f64_e32 v13, v[9:10]
	v_mov_b32_e32 v6, s5
	v_add_co_u32_e32 v25, vcc, s4, v0
	s_waitcnt lgkmcnt(0)
	v_mul_f32_e32 v9, v37, v5
	v_fmac_f32_e32 v9, v36, v4
	v_mul_f32_e32 v4, v37, v4
	v_fma_f32 v4, v36, v5, -v4
	v_cvt_f64_f32_e32 v[9:10], v9
	v_cvt_f64_f32_e32 v[4:5], v4
	v_addc_co_u32_e32 v26, vcc, v6, v1, vcc
	v_mul_f64 v[0:1], v[9:10], s[2:3]
	v_mul_f64 v[4:5], v[4:5], s[2:3]
	v_mov_b32_e32 v8, v11
	v_lshlrev_b64 v[6:7], 3, v[7:8]
	s_mul_i32 s4, s1, 0x180
	v_add_co_u32_e32 v8, vcc, v25, v6
	v_addc_co_u32_e32 v9, vcc, v26, v7, vcc
	v_cvt_f32_f64_e32 v0, v[0:1]
	v_cvt_f32_f64_e32 v1, v[4:5]
	ds_read2_b64 v[4:7], v80 offset0:72 offset1:96
	s_mul_hi_u32 s5, s0, 0x180
	s_add_i32 s6, s5, s4
	s_mul_i32 s7, s0, 0x180
	global_store_dwordx2 v[8:9], v[12:13], off
	s_waitcnt lgkmcnt(0)
	v_mul_f32_e32 v10, v31, v7
	v_fmac_f32_e32 v10, v30, v6
	v_cvt_f64_f32_e32 v[10:11], v10
	v_mul_f32_e32 v6, v31, v6
	v_fma_f32 v6, v30, v7, -v6
	v_cvt_f64_f32_e32 v[6:7], v6
	v_mul_f64 v[10:11], v[10:11], s[2:3]
	v_mov_b32_e32 v13, s6
	v_add_co_u32_e32 v12, vcc, s7, v8
	v_addc_co_u32_e32 v13, vcc, v9, v13, vcc
	v_mul_f64 v[16:17], v[6:7], s[2:3]
	ds_read2_b64 v[6:9], v80 offset0:120 offset1:144
	global_store_dwordx2 v[12:13], v[0:1], off
	v_mad_u64_u32 v[0:1], s[4:5], s0, v77, 0
	v_cvt_f32_f64_e32 v18, v[10:11]
	v_mad_u64_u32 v[10:11], s[4:5], s1, v77, v[1:2]
	s_waitcnt lgkmcnt(0)
	v_mul_f32_e32 v1, v35, v9
	v_fmac_f32_e32 v1, v34, v8
	v_mul_f32_e32 v8, v35, v8
	v_fma_f32 v8, v34, v9, -v8
	v_cvt_f64_f32_e32 v[20:21], v1
	v_cvt_f64_f32_e32 v[8:9], v8
	v_cvt_f32_f64_e32 v19, v[16:17]
	v_mov_b32_e32 v1, v10
	v_mul_f64 v[16:17], v[20:21], s[2:3]
	v_mul_f64 v[20:21], v[8:9], s[2:3]
	ds_read2_b64 v[8:11], v80 offset0:168 offset1:192
	v_lshlrev_b64 v[0:1], 3, v[0:1]
	v_add_co_u32_e32 v0, vcc, v25, v0
	v_addc_co_u32_e32 v1, vcc, v26, v1, vcc
	global_store_dwordx2 v[0:1], v[18:19], off
	s_waitcnt lgkmcnt(0)
	v_mul_f32_e32 v1, v39, v11
	v_fmac_f32_e32 v1, v38, v10
	v_mul_f32_e32 v10, v39, v10
	v_fma_f32 v10, v38, v11, -v10
	v_cvt_f32_f64_e32 v0, v[16:17]
	v_mad_u64_u32 v[16:17], s[4:5], s0, v76, v[12:13]
	v_cvt_f64_f32_e32 v[12:13], v1
	v_cvt_f64_f32_e32 v[10:11], v10
	v_cvt_f32_f64_e32 v1, v[20:21]
	v_add_u32_e32 v17, s8, v17
	v_mul_f64 v[18:19], v[12:13], s[2:3]
	v_mul_f64 v[20:21], v[10:11], s[2:3]
	ds_read2_b64 v[10:13], v80 offset0:216 offset1:240
	global_store_dwordx2 v[16:17], v[0:1], off
	v_mad_u64_u32 v[0:1], s[4:5], s0, v78, 0
	v_mad_u64_u32 v[16:17], s[4:5], s0, v76, v[16:17]
	;; [unrolled: 1-line block ×3, first 2 shown]
	s_waitcnt lgkmcnt(0)
	v_mul_f32_e32 v1, v33, v13
	v_fmac_f32_e32 v1, v32, v12
	v_mul_f32_e32 v12, v33, v12
	v_fma_f32 v12, v32, v13, -v12
	v_cvt_f64_f32_e32 v[12:13], v12
	v_cvt_f64_f32_e32 v[23:24], v1
	v_mov_b32_e32 v1, v22
	v_cvt_f32_f64_e32 v18, v[18:19]
	v_cvt_f32_f64_e32 v19, v[20:21]
	v_lshlrev_b64 v[0:1], 3, v[0:1]
	v_mul_f64 v[12:13], v[12:13], s[2:3]
	v_add_co_u32_e32 v0, vcc, v25, v0
	v_addc_co_u32_e32 v1, vcc, v26, v1, vcc
	global_store_dwordx2 v[0:1], v[18:19], off
	v_mul_f32_e32 v1, v45, v3
	v_fmac_f32_e32 v1, v44, v2
	v_cvt_f64_f32_e32 v[18:19], v1
	v_mul_f64 v[20:21], v[23:24], s[2:3]
	v_mul_f32_e32 v1, v45, v2
	v_fma_f32 v1, v44, v3, -v1
	v_cvt_f64_f32_e32 v[2:3], v1
	v_cvt_f32_f64_e32 v1, v[12:13]
	v_mul_f64 v[12:13], v[18:19], s[2:3]
	v_mul_f32_e32 v18, v41, v5
	v_fmac_f32_e32 v18, v40, v4
	v_mul_f32_e32 v4, v41, v4
	v_fma_f32 v4, v40, v5, -v4
	v_mul_f64 v[2:3], v[2:3], s[2:3]
	v_cvt_f64_f32_e32 v[4:5], v4
	v_cvt_f32_f64_e32 v0, v[20:21]
	v_cvt_f64_f32_e32 v[18:19], v18
	v_add_u32_e32 v17, s8, v17
	v_mul_f64 v[4:5], v[4:5], s[2:3]
	global_store_dwordx2 v[16:17], v[0:1], off
	v_cvt_f32_f64_e32 v0, v[12:13]
	v_mul_f64 v[12:13], v[18:19], s[2:3]
	v_mad_u64_u32 v[16:17], s[4:5], s0, v79, v[16:17]
	v_cvt_f32_f64_e32 v1, v[2:3]
	s_mulk_i32 s1, 0xf940
	s_sub_i32 s0, s1, s0
	v_add_u32_e32 v17, s0, v17
	global_store_dwordx2 v[16:17], v[0:1], off
	v_cvt_f32_f64_e32 v1, v[4:5]
	v_mul_f32_e32 v2, v49, v7
	v_mul_f32_e32 v4, v49, v6
	v_fmac_f32_e32 v2, v48, v6
	v_fma_f32 v4, v48, v7, -v4
	v_cvt_f32_f64_e32 v0, v[12:13]
	v_cvt_f64_f32_e32 v[2:3], v2
	v_cvt_f64_f32_e32 v[4:5], v4
	v_mov_b32_e32 v12, s6
	v_add_co_u32_e32 v6, vcc, s7, v16
	v_addc_co_u32_e32 v7, vcc, v17, v12, vcc
	global_store_dwordx2 v[6:7], v[0:1], off
	v_mul_f64 v[0:1], v[2:3], s[2:3]
	v_mul_f64 v[2:3], v[4:5], s[2:3]
	v_mul_f32_e32 v4, v43, v9
	v_fmac_f32_e32 v4, v42, v8
	v_mul_f32_e32 v8, v43, v8
	v_fma_f32 v8, v42, v9, -v8
	v_cvt_f64_f32_e32 v[4:5], v4
	v_cvt_f64_f32_e32 v[8:9], v8
	v_cvt_f32_f64_e32 v0, v[0:1]
	v_cvt_f32_f64_e32 v1, v[2:3]
	v_mul_f64 v[2:3], v[4:5], s[2:3]
	v_mul_f64 v[4:5], v[8:9], s[2:3]
	v_mov_b32_e32 v8, s6
	v_add_co_u32_e32 v6, vcc, s7, v6
	v_addc_co_u32_e32 v7, vcc, v7, v8, vcc
	global_store_dwordx2 v[6:7], v[0:1], off
	v_cvt_f32_f64_e32 v0, v[2:3]
	v_cvt_f32_f64_e32 v1, v[4:5]
	v_mul_f32_e32 v2, v51, v11
	v_mul_f32_e32 v4, v51, v10
	v_fmac_f32_e32 v2, v50, v10
	v_fma_f32 v4, v50, v11, -v4
	v_cvt_f64_f32_e32 v[2:3], v2
	v_cvt_f64_f32_e32 v[4:5], v4
	v_add_co_u32_e32 v6, vcc, s7, v6
	v_addc_co_u32_e32 v7, vcc, v7, v8, vcc
	global_store_dwordx2 v[6:7], v[0:1], off
	v_mul_f64 v[0:1], v[2:3], s[2:3]
	v_mul_f64 v[2:3], v[4:5], s[2:3]
	v_mul_f32_e32 v4, v47, v15
	v_mul_f32_e32 v8, v47, v14
	v_fmac_f32_e32 v4, v46, v14
	v_fma_f32 v8, v46, v15, -v8
	v_cvt_f64_f32_e32 v[4:5], v4
	v_cvt_f64_f32_e32 v[8:9], v8
	v_cvt_f32_f64_e32 v0, v[0:1]
	v_cvt_f32_f64_e32 v1, v[2:3]
	v_mul_f64 v[2:3], v[4:5], s[2:3]
	v_mul_f64 v[4:5], v[8:9], s[2:3]
	v_mov_b32_e32 v8, s6
	v_add_co_u32_e32 v6, vcc, s7, v6
	v_addc_co_u32_e32 v7, vcc, v7, v8, vcc
	global_store_dwordx2 v[6:7], v[0:1], off
	v_cvt_f32_f64_e32 v0, v[2:3]
	v_cvt_f32_f64_e32 v1, v[4:5]
	v_mov_b32_e32 v3, s6
	v_add_co_u32_e32 v2, vcc, s7, v6
	v_addc_co_u32_e32 v3, vcc, v7, v3, vcc
	global_store_dwordx2 v[2:3], v[0:1], off
.LBB0_2:
	s_endpgm
	.section	.rodata,"a",@progbits
	.p2align	6, 0x0
	.amdhsa_kernel bluestein_single_back_len288_dim1_sp_op_CI_CI
		.amdhsa_group_segment_fixed_size 11520
		.amdhsa_private_segment_fixed_size 0
		.amdhsa_kernarg_size 104
		.amdhsa_user_sgpr_count 6
		.amdhsa_user_sgpr_private_segment_buffer 1
		.amdhsa_user_sgpr_dispatch_ptr 0
		.amdhsa_user_sgpr_queue_ptr 0
		.amdhsa_user_sgpr_kernarg_segment_ptr 1
		.amdhsa_user_sgpr_dispatch_id 0
		.amdhsa_user_sgpr_flat_scratch_init 0
		.amdhsa_user_sgpr_private_segment_size 0
		.amdhsa_uses_dynamic_stack 0
		.amdhsa_system_sgpr_private_segment_wavefront_offset 0
		.amdhsa_system_sgpr_workgroup_id_x 1
		.amdhsa_system_sgpr_workgroup_id_y 0
		.amdhsa_system_sgpr_workgroup_id_z 0
		.amdhsa_system_sgpr_workgroup_info 0
		.amdhsa_system_vgpr_workitem_id 0
		.amdhsa_next_free_vgpr 123
		.amdhsa_next_free_sgpr 20
		.amdhsa_reserve_vcc 1
		.amdhsa_reserve_flat_scratch 0
		.amdhsa_float_round_mode_32 0
		.amdhsa_float_round_mode_16_64 0
		.amdhsa_float_denorm_mode_32 3
		.amdhsa_float_denorm_mode_16_64 3
		.amdhsa_dx10_clamp 1
		.amdhsa_ieee_mode 1
		.amdhsa_fp16_overflow 0
		.amdhsa_exception_fp_ieee_invalid_op 0
		.amdhsa_exception_fp_denorm_src 0
		.amdhsa_exception_fp_ieee_div_zero 0
		.amdhsa_exception_fp_ieee_overflow 0
		.amdhsa_exception_fp_ieee_underflow 0
		.amdhsa_exception_fp_ieee_inexact 0
		.amdhsa_exception_int_div_zero 0
	.end_amdhsa_kernel
	.text
.Lfunc_end0:
	.size	bluestein_single_back_len288_dim1_sp_op_CI_CI, .Lfunc_end0-bluestein_single_back_len288_dim1_sp_op_CI_CI
                                        ; -- End function
	.section	.AMDGPU.csdata,"",@progbits
; Kernel info:
; codeLenInByte = 8168
; NumSgprs: 24
; NumVgprs: 123
; ScratchSize: 0
; MemoryBound: 0
; FloatMode: 240
; IeeeMode: 1
; LDSByteSize: 11520 bytes/workgroup (compile time only)
; SGPRBlocks: 2
; VGPRBlocks: 30
; NumSGPRsForWavesPerEU: 24
; NumVGPRsForWavesPerEU: 123
; Occupancy: 2
; WaveLimiterHint : 1
; COMPUTE_PGM_RSRC2:SCRATCH_EN: 0
; COMPUTE_PGM_RSRC2:USER_SGPR: 6
; COMPUTE_PGM_RSRC2:TRAP_HANDLER: 0
; COMPUTE_PGM_RSRC2:TGID_X_EN: 1
; COMPUTE_PGM_RSRC2:TGID_Y_EN: 0
; COMPUTE_PGM_RSRC2:TGID_Z_EN: 0
; COMPUTE_PGM_RSRC2:TIDIG_COMP_CNT: 0
	.type	__hip_cuid_b5d62f0743d3fa87,@object ; @__hip_cuid_b5d62f0743d3fa87
	.section	.bss,"aw",@nobits
	.globl	__hip_cuid_b5d62f0743d3fa87
__hip_cuid_b5d62f0743d3fa87:
	.byte	0                               ; 0x0
	.size	__hip_cuid_b5d62f0743d3fa87, 1

	.ident	"AMD clang version 19.0.0git (https://github.com/RadeonOpenCompute/llvm-project roc-6.4.0 25133 c7fe45cf4b819c5991fe208aaa96edf142730f1d)"
	.section	".note.GNU-stack","",@progbits
	.addrsig
	.addrsig_sym __hip_cuid_b5d62f0743d3fa87
	.amdgpu_metadata
---
amdhsa.kernels:
  - .args:
      - .actual_access:  read_only
        .address_space:  global
        .offset:         0
        .size:           8
        .value_kind:     global_buffer
      - .actual_access:  read_only
        .address_space:  global
        .offset:         8
        .size:           8
        .value_kind:     global_buffer
      - .actual_access:  read_only
        .address_space:  global
        .offset:         16
        .size:           8
        .value_kind:     global_buffer
      - .actual_access:  read_only
        .address_space:  global
        .offset:         24
        .size:           8
        .value_kind:     global_buffer
      - .actual_access:  read_only
        .address_space:  global
        .offset:         32
        .size:           8
        .value_kind:     global_buffer
      - .offset:         40
        .size:           8
        .value_kind:     by_value
      - .address_space:  global
        .offset:         48
        .size:           8
        .value_kind:     global_buffer
      - .address_space:  global
        .offset:         56
        .size:           8
        .value_kind:     global_buffer
      - .address_space:  global
        .offset:         64
        .size:           8
        .value_kind:     global_buffer
      - .address_space:  global
        .offset:         72
        .size:           8
        .value_kind:     global_buffer
      - .offset:         80
        .size:           4
        .value_kind:     by_value
      - .address_space:  global
        .offset:         88
        .size:           8
        .value_kind:     global_buffer
      - .address_space:  global
        .offset:         96
        .size:           8
        .value_kind:     global_buffer
    .group_segment_fixed_size: 11520
    .kernarg_segment_align: 8
    .kernarg_segment_size: 104
    .language:       OpenCL C
    .language_version:
      - 2
      - 0
    .max_flat_workgroup_size: 120
    .name:           bluestein_single_back_len288_dim1_sp_op_CI_CI
    .private_segment_fixed_size: 0
    .sgpr_count:     24
    .sgpr_spill_count: 0
    .symbol:         bluestein_single_back_len288_dim1_sp_op_CI_CI.kd
    .uniform_work_group_size: 1
    .uses_dynamic_stack: false
    .vgpr_count:     123
    .vgpr_spill_count: 0
    .wavefront_size: 64
amdhsa.target:   amdgcn-amd-amdhsa--gfx906
amdhsa.version:
  - 1
  - 2
...

	.end_amdgpu_metadata
